;; amdgpu-corpus repo=ROCm/rocFFT kind=compiled arch=gfx1100 opt=O3
	.text
	.amdgcn_target "amdgcn-amd-amdhsa--gfx1100"
	.amdhsa_code_object_version 6
	.protected	fft_rtc_back_len1320_factors_11_2_3_5_4_wgs_165_tpt_165_dp_ip_CI_unitstride_sbrr_C2R_dirReg ; -- Begin function fft_rtc_back_len1320_factors_11_2_3_5_4_wgs_165_tpt_165_dp_ip_CI_unitstride_sbrr_C2R_dirReg
	.globl	fft_rtc_back_len1320_factors_11_2_3_5_4_wgs_165_tpt_165_dp_ip_CI_unitstride_sbrr_C2R_dirReg
	.p2align	8
	.type	fft_rtc_back_len1320_factors_11_2_3_5_4_wgs_165_tpt_165_dp_ip_CI_unitstride_sbrr_C2R_dirReg,@function
fft_rtc_back_len1320_factors_11_2_3_5_4_wgs_165_tpt_165_dp_ip_CI_unitstride_sbrr_C2R_dirReg: ; @fft_rtc_back_len1320_factors_11_2_3_5_4_wgs_165_tpt_165_dp_ip_CI_unitstride_sbrr_C2R_dirReg
; %bb.0:
	s_clause 0x2
	s_load_b128 s[4:7], s[0:1], 0x0
	s_load_b64 s[8:9], s[0:1], 0x50
	s_load_b64 s[10:11], s[0:1], 0x18
	v_mul_u32_u24_e32 v1, 0x18e, v0
	v_mov_b32_e32 v3, 0
	v_mov_b32_e32 v4, 0
	s_delay_alu instid0(VALU_DEP_3) | instskip(SKIP_1) | instid1(VALU_DEP_1)
	v_lshrrev_b32_e32 v2, 16, v1
	v_mov_b32_e32 v1, 0
	v_dual_mov_b32 v6, v1 :: v_dual_add_nc_u32 v5, s15, v2
	s_waitcnt lgkmcnt(0)
	v_cmp_lt_u64_e64 s2, s[6:7], 2
	s_delay_alu instid0(VALU_DEP_1)
	s_and_b32 vcc_lo, exec_lo, s2
	s_cbranch_vccnz .LBB0_8
; %bb.1:
	s_load_b64 s[2:3], s[0:1], 0x10
	v_mov_b32_e32 v3, 0
	s_add_u32 s12, s10, 8
	v_mov_b32_e32 v4, 0
	s_addc_u32 s13, s11, 0
	s_mov_b64 s[16:17], 1
	s_waitcnt lgkmcnt(0)
	s_add_u32 s14, s2, 8
	s_addc_u32 s15, s3, 0
.LBB0_2:                                ; =>This Inner Loop Header: Depth=1
	s_load_b64 s[18:19], s[14:15], 0x0
                                        ; implicit-def: $vgpr7_vgpr8
	s_mov_b32 s2, exec_lo
	s_waitcnt lgkmcnt(0)
	v_or_b32_e32 v2, s19, v6
	s_delay_alu instid0(VALU_DEP_1)
	v_cmpx_ne_u64_e32 0, v[1:2]
	s_xor_b32 s3, exec_lo, s2
	s_cbranch_execz .LBB0_4
; %bb.3:                                ;   in Loop: Header=BB0_2 Depth=1
	v_cvt_f32_u32_e32 v2, s18
	v_cvt_f32_u32_e32 v7, s19
	s_sub_u32 s2, 0, s18
	s_subb_u32 s20, 0, s19
	s_delay_alu instid0(VALU_DEP_1) | instskip(NEXT) | instid1(VALU_DEP_1)
	v_fmac_f32_e32 v2, 0x4f800000, v7
	v_rcp_f32_e32 v2, v2
	s_waitcnt_depctr 0xfff
	v_mul_f32_e32 v2, 0x5f7ffffc, v2
	s_delay_alu instid0(VALU_DEP_1) | instskip(NEXT) | instid1(VALU_DEP_1)
	v_mul_f32_e32 v7, 0x2f800000, v2
	v_trunc_f32_e32 v7, v7
	s_delay_alu instid0(VALU_DEP_1) | instskip(SKIP_1) | instid1(VALU_DEP_2)
	v_fmac_f32_e32 v2, 0xcf800000, v7
	v_cvt_u32_f32_e32 v7, v7
	v_cvt_u32_f32_e32 v2, v2
	s_delay_alu instid0(VALU_DEP_2) | instskip(NEXT) | instid1(VALU_DEP_2)
	v_mul_lo_u32 v8, s2, v7
	v_mul_hi_u32 v9, s2, v2
	v_mul_lo_u32 v10, s20, v2
	s_delay_alu instid0(VALU_DEP_2) | instskip(SKIP_1) | instid1(VALU_DEP_2)
	v_add_nc_u32_e32 v8, v9, v8
	v_mul_lo_u32 v9, s2, v2
	v_add_nc_u32_e32 v8, v8, v10
	s_delay_alu instid0(VALU_DEP_2) | instskip(NEXT) | instid1(VALU_DEP_2)
	v_mul_hi_u32 v10, v2, v9
	v_mul_lo_u32 v11, v2, v8
	v_mul_hi_u32 v12, v2, v8
	v_mul_hi_u32 v13, v7, v9
	v_mul_lo_u32 v9, v7, v9
	v_mul_hi_u32 v14, v7, v8
	v_mul_lo_u32 v8, v7, v8
	v_add_co_u32 v10, vcc_lo, v10, v11
	v_add_co_ci_u32_e32 v11, vcc_lo, 0, v12, vcc_lo
	s_delay_alu instid0(VALU_DEP_2) | instskip(NEXT) | instid1(VALU_DEP_2)
	v_add_co_u32 v9, vcc_lo, v10, v9
	v_add_co_ci_u32_e32 v9, vcc_lo, v11, v13, vcc_lo
	v_add_co_ci_u32_e32 v10, vcc_lo, 0, v14, vcc_lo
	s_delay_alu instid0(VALU_DEP_2) | instskip(NEXT) | instid1(VALU_DEP_2)
	v_add_co_u32 v8, vcc_lo, v9, v8
	v_add_co_ci_u32_e32 v9, vcc_lo, 0, v10, vcc_lo
	s_delay_alu instid0(VALU_DEP_2) | instskip(NEXT) | instid1(VALU_DEP_2)
	v_add_co_u32 v2, vcc_lo, v2, v8
	v_add_co_ci_u32_e32 v7, vcc_lo, v7, v9, vcc_lo
	s_delay_alu instid0(VALU_DEP_2) | instskip(SKIP_1) | instid1(VALU_DEP_3)
	v_mul_hi_u32 v8, s2, v2
	v_mul_lo_u32 v10, s20, v2
	v_mul_lo_u32 v9, s2, v7
	s_delay_alu instid0(VALU_DEP_1) | instskip(SKIP_1) | instid1(VALU_DEP_2)
	v_add_nc_u32_e32 v8, v8, v9
	v_mul_lo_u32 v9, s2, v2
	v_add_nc_u32_e32 v8, v8, v10
	s_delay_alu instid0(VALU_DEP_2) | instskip(NEXT) | instid1(VALU_DEP_2)
	v_mul_hi_u32 v10, v2, v9
	v_mul_lo_u32 v11, v2, v8
	v_mul_hi_u32 v12, v2, v8
	v_mul_hi_u32 v13, v7, v9
	v_mul_lo_u32 v9, v7, v9
	v_mul_hi_u32 v14, v7, v8
	v_mul_lo_u32 v8, v7, v8
	v_add_co_u32 v10, vcc_lo, v10, v11
	v_add_co_ci_u32_e32 v11, vcc_lo, 0, v12, vcc_lo
	s_delay_alu instid0(VALU_DEP_2) | instskip(NEXT) | instid1(VALU_DEP_2)
	v_add_co_u32 v9, vcc_lo, v10, v9
	v_add_co_ci_u32_e32 v9, vcc_lo, v11, v13, vcc_lo
	v_add_co_ci_u32_e32 v10, vcc_lo, 0, v14, vcc_lo
	s_delay_alu instid0(VALU_DEP_2) | instskip(NEXT) | instid1(VALU_DEP_2)
	v_add_co_u32 v8, vcc_lo, v9, v8
	v_add_co_ci_u32_e32 v9, vcc_lo, 0, v10, vcc_lo
	s_delay_alu instid0(VALU_DEP_2) | instskip(NEXT) | instid1(VALU_DEP_2)
	v_add_co_u32 v2, vcc_lo, v2, v8
	v_add_co_ci_u32_e32 v13, vcc_lo, v7, v9, vcc_lo
	s_delay_alu instid0(VALU_DEP_2) | instskip(SKIP_1) | instid1(VALU_DEP_3)
	v_mul_hi_u32 v14, v5, v2
	v_mad_u64_u32 v[9:10], null, v6, v2, 0
	v_mad_u64_u32 v[7:8], null, v5, v13, 0
	;; [unrolled: 1-line block ×3, first 2 shown]
	s_delay_alu instid0(VALU_DEP_2) | instskip(NEXT) | instid1(VALU_DEP_3)
	v_add_co_u32 v2, vcc_lo, v14, v7
	v_add_co_ci_u32_e32 v7, vcc_lo, 0, v8, vcc_lo
	s_delay_alu instid0(VALU_DEP_2) | instskip(NEXT) | instid1(VALU_DEP_2)
	v_add_co_u32 v2, vcc_lo, v2, v9
	v_add_co_ci_u32_e32 v2, vcc_lo, v7, v10, vcc_lo
	v_add_co_ci_u32_e32 v7, vcc_lo, 0, v12, vcc_lo
	s_delay_alu instid0(VALU_DEP_2) | instskip(NEXT) | instid1(VALU_DEP_2)
	v_add_co_u32 v2, vcc_lo, v2, v11
	v_add_co_ci_u32_e32 v9, vcc_lo, 0, v7, vcc_lo
	s_delay_alu instid0(VALU_DEP_2) | instskip(SKIP_1) | instid1(VALU_DEP_3)
	v_mul_lo_u32 v10, s19, v2
	v_mad_u64_u32 v[7:8], null, s18, v2, 0
	v_mul_lo_u32 v11, s18, v9
	s_delay_alu instid0(VALU_DEP_2) | instskip(NEXT) | instid1(VALU_DEP_2)
	v_sub_co_u32 v7, vcc_lo, v5, v7
	v_add3_u32 v8, v8, v11, v10
	s_delay_alu instid0(VALU_DEP_1) | instskip(NEXT) | instid1(VALU_DEP_1)
	v_sub_nc_u32_e32 v10, v6, v8
	v_subrev_co_ci_u32_e64 v10, s2, s19, v10, vcc_lo
	v_add_co_u32 v11, s2, v2, 2
	s_delay_alu instid0(VALU_DEP_1) | instskip(SKIP_3) | instid1(VALU_DEP_3)
	v_add_co_ci_u32_e64 v12, s2, 0, v9, s2
	v_sub_co_u32 v13, s2, v7, s18
	v_sub_co_ci_u32_e32 v8, vcc_lo, v6, v8, vcc_lo
	v_subrev_co_ci_u32_e64 v10, s2, 0, v10, s2
	v_cmp_le_u32_e32 vcc_lo, s18, v13
	s_delay_alu instid0(VALU_DEP_3) | instskip(SKIP_1) | instid1(VALU_DEP_4)
	v_cmp_eq_u32_e64 s2, s19, v8
	v_cndmask_b32_e64 v13, 0, -1, vcc_lo
	v_cmp_le_u32_e32 vcc_lo, s19, v10
	v_cndmask_b32_e64 v14, 0, -1, vcc_lo
	v_cmp_le_u32_e32 vcc_lo, s18, v7
	;; [unrolled: 2-line block ×3, first 2 shown]
	v_cndmask_b32_e64 v15, 0, -1, vcc_lo
	v_cmp_eq_u32_e32 vcc_lo, s19, v10
	s_delay_alu instid0(VALU_DEP_2) | instskip(SKIP_3) | instid1(VALU_DEP_3)
	v_cndmask_b32_e64 v7, v15, v7, s2
	v_cndmask_b32_e32 v10, v14, v13, vcc_lo
	v_add_co_u32 v13, vcc_lo, v2, 1
	v_add_co_ci_u32_e32 v14, vcc_lo, 0, v9, vcc_lo
	v_cmp_ne_u32_e32 vcc_lo, 0, v10
	s_delay_alu instid0(VALU_DEP_2) | instskip(NEXT) | instid1(VALU_DEP_4)
	v_cndmask_b32_e32 v8, v14, v12, vcc_lo
	v_cndmask_b32_e32 v10, v13, v11, vcc_lo
	v_cmp_ne_u32_e32 vcc_lo, 0, v7
	s_delay_alu instid0(VALU_DEP_2)
	v_dual_cndmask_b32 v7, v2, v10 :: v_dual_cndmask_b32 v8, v9, v8
.LBB0_4:                                ;   in Loop: Header=BB0_2 Depth=1
	s_and_not1_saveexec_b32 s2, s3
	s_cbranch_execz .LBB0_6
; %bb.5:                                ;   in Loop: Header=BB0_2 Depth=1
	v_cvt_f32_u32_e32 v2, s18
	s_sub_i32 s3, 0, s18
	s_delay_alu instid0(VALU_DEP_1) | instskip(SKIP_2) | instid1(VALU_DEP_1)
	v_rcp_iflag_f32_e32 v2, v2
	s_waitcnt_depctr 0xfff
	v_mul_f32_e32 v2, 0x4f7ffffe, v2
	v_cvt_u32_f32_e32 v2, v2
	s_delay_alu instid0(VALU_DEP_1) | instskip(NEXT) | instid1(VALU_DEP_1)
	v_mul_lo_u32 v7, s3, v2
	v_mul_hi_u32 v7, v2, v7
	s_delay_alu instid0(VALU_DEP_1) | instskip(NEXT) | instid1(VALU_DEP_1)
	v_add_nc_u32_e32 v2, v2, v7
	v_mul_hi_u32 v2, v5, v2
	s_delay_alu instid0(VALU_DEP_1) | instskip(SKIP_1) | instid1(VALU_DEP_2)
	v_mul_lo_u32 v7, v2, s18
	v_add_nc_u32_e32 v8, 1, v2
	v_sub_nc_u32_e32 v7, v5, v7
	s_delay_alu instid0(VALU_DEP_1) | instskip(SKIP_1) | instid1(VALU_DEP_2)
	v_subrev_nc_u32_e32 v9, s18, v7
	v_cmp_le_u32_e32 vcc_lo, s18, v7
	v_dual_cndmask_b32 v7, v7, v9 :: v_dual_cndmask_b32 v2, v2, v8
	s_delay_alu instid0(VALU_DEP_1) | instskip(NEXT) | instid1(VALU_DEP_2)
	v_cmp_le_u32_e32 vcc_lo, s18, v7
	v_add_nc_u32_e32 v8, 1, v2
	s_delay_alu instid0(VALU_DEP_1)
	v_dual_cndmask_b32 v7, v2, v8 :: v_dual_mov_b32 v8, v1
.LBB0_6:                                ;   in Loop: Header=BB0_2 Depth=1
	s_or_b32 exec_lo, exec_lo, s2
	s_load_b64 s[2:3], s[12:13], 0x0
	s_delay_alu instid0(VALU_DEP_1) | instskip(NEXT) | instid1(VALU_DEP_2)
	v_mul_lo_u32 v2, v8, s18
	v_mul_lo_u32 v11, v7, s19
	v_mad_u64_u32 v[9:10], null, v7, s18, 0
	s_add_u32 s16, s16, 1
	s_addc_u32 s17, s17, 0
	s_add_u32 s12, s12, 8
	s_addc_u32 s13, s13, 0
	;; [unrolled: 2-line block ×3, first 2 shown]
	s_delay_alu instid0(VALU_DEP_1) | instskip(SKIP_1) | instid1(VALU_DEP_2)
	v_add3_u32 v2, v10, v11, v2
	v_sub_co_u32 v9, vcc_lo, v5, v9
	v_sub_co_ci_u32_e32 v2, vcc_lo, v6, v2, vcc_lo
	s_waitcnt lgkmcnt(0)
	s_delay_alu instid0(VALU_DEP_2) | instskip(NEXT) | instid1(VALU_DEP_2)
	v_mul_lo_u32 v10, s3, v9
	v_mul_lo_u32 v2, s2, v2
	v_mad_u64_u32 v[5:6], null, s2, v9, v[3:4]
	v_cmp_ge_u64_e64 s2, s[16:17], s[6:7]
	s_delay_alu instid0(VALU_DEP_1) | instskip(NEXT) | instid1(VALU_DEP_2)
	s_and_b32 vcc_lo, exec_lo, s2
	v_add3_u32 v4, v10, v6, v2
	s_delay_alu instid0(VALU_DEP_3)
	v_mov_b32_e32 v3, v5
	s_cbranch_vccnz .LBB0_9
; %bb.7:                                ;   in Loop: Header=BB0_2 Depth=1
	v_dual_mov_b32 v5, v7 :: v_dual_mov_b32 v6, v8
	s_branch .LBB0_2
.LBB0_8:
	v_dual_mov_b32 v8, v6 :: v_dual_mov_b32 v7, v5
.LBB0_9:
	s_lshl_b64 s[2:3], s[6:7], 3
	s_delay_alu instid0(SALU_CYCLE_1)
	s_add_u32 s2, s10, s2
	s_addc_u32 s3, s11, s3
	s_load_b64 s[2:3], s[2:3], 0x0
	s_load_b64 s[0:1], s[0:1], 0x20
	s_waitcnt lgkmcnt(0)
	v_mul_lo_u32 v5, s2, v8
	v_mul_lo_u32 v6, s3, v7
	v_mad_u64_u32 v[1:2], null, s2, v7, v[3:4]
	v_mul_hi_u32 v3, 0x18d3019, v0
	v_cmp_gt_u64_e32 vcc_lo, s[0:1], v[7:8]
	s_delay_alu instid0(VALU_DEP_3) | instskip(NEXT) | instid1(VALU_DEP_3)
	v_add3_u32 v2, v6, v2, v5
	v_mul_u32_u24_e32 v3, 0xa5, v3
	s_delay_alu instid0(VALU_DEP_2) | instskip(NEXT) | instid1(VALU_DEP_2)
	v_lshlrev_b64 v[54:55], 4, v[1:2]
	v_sub_nc_u32_e32 v52, v0, v3
	s_and_saveexec_b32 s1, vcc_lo
	s_cbranch_execz .LBB0_13
; %bb.10:
	v_mov_b32_e32 v53, 0
	s_delay_alu instid0(VALU_DEP_3) | instskip(NEXT) | instid1(VALU_DEP_1)
	v_add_co_u32 v0, s0, s8, v54
	v_add_co_ci_u32_e64 v1, s0, s9, v55, s0
	s_delay_alu instid0(VALU_DEP_3) | instskip(SKIP_2) | instid1(VALU_DEP_2)
	v_lshlrev_b64 v[2:3], 4, v[52:53]
	v_lshl_add_u32 v34, v52, 4, 0
	s_mov_b32 s2, exec_lo
	v_add_co_u32 v10, s0, v0, v2
	s_delay_alu instid0(VALU_DEP_1) | instskip(SKIP_4) | instid1(VALU_DEP_1)
	v_add_co_ci_u32_e64 v11, s0, v1, v3, s0
	s_clause 0x1
	global_load_b128 v[2:5], v[10:11], off
	global_load_b128 v[6:9], v[10:11], off offset:2640
	v_add_co_u32 v14, s0, 0x1000, v10
	v_add_co_ci_u32_e64 v15, s0, 0, v11, s0
	v_add_co_u32 v18, s0, 0x2000, v10
	s_delay_alu instid0(VALU_DEP_1) | instskip(SKIP_1) | instid1(VALU_DEP_1)
	v_add_co_ci_u32_e64 v19, s0, 0, v11, s0
	v_add_co_u32 v26, s0, 0x3000, v10
	v_add_co_ci_u32_e64 v27, s0, 0, v11, s0
	v_add_co_u32 v30, s0, 0x4000, v10
	s_delay_alu instid0(VALU_DEP_1)
	v_add_co_ci_u32_e64 v31, s0, 0, v11, s0
	s_clause 0x5
	global_load_b128 v[10:13], v[14:15], off offset:1184
	global_load_b128 v[14:17], v[14:15], off offset:3824
	;; [unrolled: 1-line block ×6, first 2 shown]
	s_waitcnt vmcnt(7)
	ds_store_b128 v34, v[2:5]
	s_waitcnt vmcnt(6)
	ds_store_b128 v34, v[6:9] offset:2640
	s_waitcnt vmcnt(5)
	ds_store_b128 v34, v[10:13] offset:5280
	;; [unrolled: 2-line block ×7, first 2 shown]
	v_cmpx_eq_u32_e32 0xa4, v52
	s_cbranch_execz .LBB0_12
; %bb.11:
	v_add_co_u32 v0, s0, 0x5000, v0
	s_delay_alu instid0(VALU_DEP_1)
	v_add_co_ci_u32_e64 v1, s0, 0, v1, s0
	v_mov_b32_e32 v52, 0xa4
	global_load_b128 v[0:3], v[0:1], off offset:640
	s_waitcnt vmcnt(0)
	ds_store_b128 v53, v[0:3] offset:21120
.LBB0_12:
	s_or_b32 exec_lo, exec_lo, s2
.LBB0_13:
	s_delay_alu instid0(SALU_CYCLE_1) | instskip(NEXT) | instid1(VALU_DEP_1)
	s_or_b32 exec_lo, exec_lo, s1
	v_lshlrev_b32_e32 v0, 4, v52
	s_waitcnt lgkmcnt(0)
	s_barrier
	buffer_gl0_inv
	s_add_u32 s1, s4, 0x51d0
	v_add_nc_u32_e32 v136, 0, v0
	v_sub_nc_u32_e32 v10, 0, v0
	s_addc_u32 s2, s5, 0
	s_mov_b32 s3, exec_lo
                                        ; implicit-def: $vgpr4_vgpr5
	ds_load_b64 v[6:7], v136
	ds_load_b64 v[8:9], v10 offset:21120
	s_waitcnt lgkmcnt(0)
	v_add_f64 v[0:1], v[6:7], v[8:9]
	v_add_f64 v[2:3], v[6:7], -v[8:9]
	v_cmpx_ne_u32_e32 0, v52
	s_xor_b32 s3, exec_lo, s3
	s_cbranch_execz .LBB0_15
; %bb.14:
	v_mov_b32_e32 v53, 0
	v_add_f64 v[13:14], v[6:7], v[8:9]
	v_add_f64 v[15:16], v[6:7], -v[8:9]
	s_delay_alu instid0(VALU_DEP_3) | instskip(NEXT) | instid1(VALU_DEP_1)
	v_lshlrev_b64 v[0:1], 4, v[52:53]
	v_add_co_u32 v0, s0, s1, v0
	s_delay_alu instid0(VALU_DEP_1)
	v_add_co_ci_u32_e64 v1, s0, s2, v1, s0
	global_load_b128 v[2:5], v[0:1], off
	ds_load_b64 v[0:1], v10 offset:21128
	ds_load_b64 v[11:12], v136 offset:8
	s_waitcnt lgkmcnt(0)
	v_add_f64 v[6:7], v[0:1], v[11:12]
	v_add_f64 v[0:1], v[11:12], -v[0:1]
	s_waitcnt vmcnt(0)
	v_fma_f64 v[8:9], v[15:16], v[4:5], v[13:14]
	v_fma_f64 v[11:12], -v[15:16], v[4:5], v[13:14]
	s_delay_alu instid0(VALU_DEP_3) | instskip(SKIP_1) | instid1(VALU_DEP_4)
	v_fma_f64 v[13:14], v[6:7], v[4:5], -v[0:1]
	v_fma_f64 v[4:5], v[6:7], v[4:5], v[0:1]
	v_fma_f64 v[0:1], -v[6:7], v[2:3], v[8:9]
	s_delay_alu instid0(VALU_DEP_4) | instskip(NEXT) | instid1(VALU_DEP_4)
	v_fma_f64 v[6:7], v[6:7], v[2:3], v[11:12]
	v_fma_f64 v[8:9], v[15:16], v[2:3], v[13:14]
	s_delay_alu instid0(VALU_DEP_4)
	v_fma_f64 v[2:3], v[15:16], v[2:3], v[4:5]
	v_dual_mov_b32 v4, v52 :: v_dual_mov_b32 v5, v53
	ds_store_b128 v10, v[6:9] offset:21120
.LBB0_15:
	s_and_not1_saveexec_b32 s0, s3
	s_cbranch_execz .LBB0_17
; %bb.16:
	v_mov_b32_e32 v8, 0
	ds_load_b128 v[4:7], v8 offset:10560
	s_waitcnt lgkmcnt(0)
	v_add_f64 v[11:12], v[4:5], v[4:5]
	v_mul_f64 v[13:14], v[6:7], -2.0
	v_mov_b32_e32 v4, 0
	v_mov_b32_e32 v5, 0
	ds_store_b128 v8, v[11:14] offset:10560
.LBB0_17:
	s_or_b32 exec_lo, exec_lo, s0
	v_lshlrev_b64 v[4:5], 4, v[4:5]
	ds_store_b128 v136, v[0:3]
	s_mov_b32 s20, 0x8eee2c13
	s_mov_b32 s12, 0x43842ef
	;; [unrolled: 1-line block ×4, first 2 shown]
	v_add_co_u32 v8, s0, s1, v4
	s_delay_alu instid0(VALU_DEP_1)
	v_add_co_ci_u32_e64 v9, s0, s2, v5, s0
	s_mov_b32 s2, 0xd9c712b6
	s_mov_b32 s3, 0x3fda9628
	;; [unrolled: 1-line block ×3, first 2 shown]
	global_load_b128 v[4:7], v[8:9], off offset:2640
	v_add_co_u32 v8, s0, 0x1000, v8
	s_delay_alu instid0(VALU_DEP_1)
	v_add_co_ci_u32_e64 v9, s0, 0, v9, s0
	s_mov_b32 s7, 0xbfc2375f
	s_mov_b32 s18, 0xbb3a28a1
	;; [unrolled: 1-line block ×3, first 2 shown]
	global_load_b128 v[11:14], v[8:9], off offset:1184
	ds_load_b128 v[0:3], v136 offset:2640
	ds_load_b128 v[15:18], v10 offset:18480
	global_load_b128 v[19:22], v[8:9], off offset:3824
	s_mov_b32 s10, 0x9bcd5057
	s_mov_b32 s19, 0xbfe82f19
	s_mov_b32 s15, 0xbfe4f49e
	s_mov_b32 s17, 0x3fd207e7
	s_mov_b32 s16, 0xfd768dbf
	s_mov_b32 s11, 0xbfeeb42a
	s_mov_b32 s23, 0x3fed1bb4
	s_mov_b32 s22, s20
	s_mov_b32 s24, 0x8764f0ba
	s_mov_b32 s30, 0xf8bb580b
	s_mov_b32 s29, 0x3fefac9e
	s_mov_b32 s25, 0x3feaeb8c
	s_mov_b32 s31, 0xbfe14ced
	s_mov_b32 s28, s12
	s_mov_b32 s27, 0x3fe14ced
	s_mov_b32 s26, s30
	s_mov_b32 s1, exec_lo
	s_waitcnt lgkmcnt(0)
	v_add_f64 v[8:9], v[0:1], v[15:16]
	v_add_f64 v[23:24], v[17:18], v[2:3]
	v_add_f64 v[15:16], v[0:1], -v[15:16]
	v_add_f64 v[0:1], v[2:3], -v[17:18]
	s_waitcnt vmcnt(2)
	s_delay_alu instid0(VALU_DEP_2) | instskip(NEXT) | instid1(VALU_DEP_2)
	v_fma_f64 v[2:3], v[15:16], v[6:7], v[8:9]
	v_fma_f64 v[17:18], v[23:24], v[6:7], v[0:1]
	v_fma_f64 v[8:9], -v[15:16], v[6:7], v[8:9]
	v_fma_f64 v[25:26], v[23:24], v[6:7], -v[0:1]
	s_delay_alu instid0(VALU_DEP_4) | instskip(NEXT) | instid1(VALU_DEP_4)
	v_fma_f64 v[0:1], -v[23:24], v[4:5], v[2:3]
	v_fma_f64 v[2:3], v[15:16], v[4:5], v[17:18]
	s_delay_alu instid0(VALU_DEP_4) | instskip(NEXT) | instid1(VALU_DEP_4)
	v_fma_f64 v[6:7], v[23:24], v[4:5], v[8:9]
	v_fma_f64 v[8:9], v[15:16], v[4:5], v[25:26]
	ds_store_b128 v136, v[0:3] offset:2640
	ds_store_b128 v10, v[6:9] offset:18480
	ds_load_b128 v[0:3], v136 offset:5280
	ds_load_b128 v[4:7], v10 offset:15840
	s_waitcnt lgkmcnt(0)
	v_add_f64 v[8:9], v[0:1], v[4:5]
	v_add_f64 v[15:16], v[6:7], v[2:3]
	v_add_f64 v[17:18], v[0:1], -v[4:5]
	v_add_f64 v[0:1], v[2:3], -v[6:7]
	s_waitcnt vmcnt(1)
	s_delay_alu instid0(VALU_DEP_2) | instskip(NEXT) | instid1(VALU_DEP_2)
	v_fma_f64 v[2:3], v[17:18], v[13:14], v[8:9]
	v_fma_f64 v[4:5], v[15:16], v[13:14], v[0:1]
	v_fma_f64 v[6:7], -v[17:18], v[13:14], v[8:9]
	v_fma_f64 v[8:9], v[15:16], v[13:14], -v[0:1]
	s_delay_alu instid0(VALU_DEP_4) | instskip(NEXT) | instid1(VALU_DEP_4)
	v_fma_f64 v[0:1], -v[15:16], v[11:12], v[2:3]
	v_fma_f64 v[2:3], v[17:18], v[11:12], v[4:5]
	s_delay_alu instid0(VALU_DEP_4) | instskip(NEXT) | instid1(VALU_DEP_4)
	v_fma_f64 v[4:5], v[15:16], v[11:12], v[6:7]
	v_fma_f64 v[6:7], v[17:18], v[11:12], v[8:9]
	ds_store_b128 v136, v[0:3] offset:5280
	ds_store_b128 v10, v[4:7] offset:15840
	ds_load_b128 v[0:3], v136 offset:7920
	ds_load_b128 v[4:7], v10 offset:13200
	s_waitcnt lgkmcnt(0)
	v_add_f64 v[8:9], v[0:1], v[4:5]
	v_add_f64 v[11:12], v[6:7], v[2:3]
	v_add_f64 v[13:14], v[0:1], -v[4:5]
	v_add_f64 v[0:1], v[2:3], -v[6:7]
	s_waitcnt vmcnt(0)
	s_delay_alu instid0(VALU_DEP_2) | instskip(NEXT) | instid1(VALU_DEP_2)
	v_fma_f64 v[2:3], v[13:14], v[21:22], v[8:9]
	v_fma_f64 v[4:5], v[11:12], v[21:22], v[0:1]
	v_fma_f64 v[6:7], -v[13:14], v[21:22], v[8:9]
	v_fma_f64 v[8:9], v[11:12], v[21:22], -v[0:1]
	s_delay_alu instid0(VALU_DEP_4) | instskip(NEXT) | instid1(VALU_DEP_4)
	v_fma_f64 v[0:1], -v[11:12], v[19:20], v[2:3]
	v_fma_f64 v[2:3], v[13:14], v[19:20], v[4:5]
	s_delay_alu instid0(VALU_DEP_4) | instskip(NEXT) | instid1(VALU_DEP_4)
	v_fma_f64 v[4:5], v[11:12], v[19:20], v[6:7]
	v_fma_f64 v[6:7], v[13:14], v[19:20], v[8:9]
	ds_store_b128 v136, v[0:3] offset:7920
	ds_store_b128 v10, v[4:7] offset:13200
	s_waitcnt lgkmcnt(0)
	s_barrier
	buffer_gl0_inv
	s_barrier
	buffer_gl0_inv
	ds_load_b128 v[8:11], v136 offset:19200
	ds_load_b128 v[28:31], v136 offset:1920
	ds_load_b128 v[20:23], v136
	ds_load_b128 v[12:15], v136 offset:17280
	ds_load_b128 v[40:43], v136 offset:3840
	;; [unrolled: 1-line block ×8, first 2 shown]
	s_waitcnt lgkmcnt(0)
	s_barrier
	buffer_gl0_inv
	v_add_f64 v[102:103], v[30:31], -v[10:11]
	v_add_f64 v[72:73], v[30:31], v[10:11]
	v_add_f64 v[90:91], v[42:43], -v[14:15]
	v_add_f64 v[84:85], v[42:43], v[14:15]
	v_add_f64 v[92:93], v[28:29], v[8:9]
	v_add_f64 v[128:129], v[28:29], -v[8:9]
	v_add_f64 v[116:117], v[50:51], -v[18:19]
	v_add_f64 v[106:107], v[50:51], v[18:19]
	v_add_f64 v[96:97], v[40:41], v[12:13]
	v_add_f64 v[122:123], v[40:41], -v[12:13]
	v_add_f64 v[104:105], v[48:49], v[16:17]
	v_add_f64 v[134:135], v[48:49], -v[16:17]
	v_add_f64 v[88:89], v[46:47], -v[26:27]
	v_add_f64 v[58:59], v[46:47], v[26:27]
	v_add_f64 v[68:69], v[44:45], v[24:25]
	v_add_f64 v[94:95], v[44:45], -v[24:25]
	v_add_f64 v[78:79], v[38:39], -v[34:35]
	v_add_f64 v[56:57], v[38:39], v[34:35]
	v_add_f64 v[86:87], v[36:37], -v[32:33]
	v_mul_f64 v[98:99], v[102:103], s[20:21]
	v_mul_f64 v[100:101], v[72:73], s[2:3]
	;; [unrolled: 1-line block ×17, first 2 shown]
	v_fma_f64 v[0:1], v[92:93], s[2:3], -v[98:99]
	v_fma_f64 v[2:3], v[128:129], s[20:21], v[100:101]
	v_fma_f64 v[4:5], v[92:93], s[6:7], -v[112:113]
	v_fma_f64 v[6:7], v[128:129], s[12:13], v[120:121]
	;; [unrolled: 2-line block ×8, first 2 shown]
	v_add_f64 v[0:1], v[20:21], v[0:1]
	v_add_f64 v[2:3], v[22:23], v[2:3]
	;; [unrolled: 1-line block ×4, first 2 shown]
	s_delay_alu instid0(VALU_DEP_4) | instskip(NEXT) | instid1(VALU_DEP_4)
	v_add_f64 v[0:1], v[60:61], v[0:1]
	v_add_f64 v[2:3], v[62:63], v[2:3]
	s_delay_alu instid0(VALU_DEP_4) | instskip(NEXT) | instid1(VALU_DEP_4)
	v_add_f64 v[4:5], v[64:65], v[4:5]
	v_add_f64 v[6:7], v[66:67], v[6:7]
	;; [unrolled: 1-line block ×3, first 2 shown]
	v_mul_f64 v[62:63], v[78:79], s[26:27]
	v_mul_f64 v[64:65], v[56:57], s[24:25]
	v_mul_f64 v[66:67], v[78:79], s[18:19]
	v_add_f64 v[0:1], v[137:138], v[0:1]
	v_add_f64 v[2:3], v[139:140], v[2:3]
	;; [unrolled: 1-line block ×4, first 2 shown]
	v_fma_f64 v[143:144], v[86:87], s[18:19], v[70:71]
	v_fma_f64 v[137:138], v[60:61], s[24:25], -v[62:63]
	v_fma_f64 v[139:140], v[86:87], s[26:27], v[64:65]
	v_fma_f64 v[141:142], v[60:61], s[14:15], -v[66:67]
	v_add_f64 v[0:1], v[145:146], v[0:1]
	v_add_f64 v[2:3], v[147:148], v[2:3]
	;; [unrolled: 1-line block ×4, first 2 shown]
	s_delay_alu instid0(VALU_DEP_4) | instskip(NEXT) | instid1(VALU_DEP_4)
	v_add_f64 v[0:1], v[137:138], v[0:1]
	v_add_f64 v[2:3], v[139:140], v[2:3]
	s_delay_alu instid0(VALU_DEP_4) | instskip(NEXT) | instid1(VALU_DEP_4)
	v_add_f64 v[4:5], v[141:142], v[4:5]
	v_add_f64 v[6:7], v[143:144], v[6:7]
	v_cmpx_gt_u32_e32 0x78, v52
	s_cbranch_execz .LBB0_19
; %bb.18:
	v_add_f64 v[28:29], v[20:21], v[28:29]
	v_add_f64 v[30:31], v[22:23], v[30:31]
	v_mul_f64 v[137:138], v[128:129], s[20:21]
	v_mul_f64 v[139:140], v[92:93], s[2:3]
	;; [unrolled: 1-line block ×4, first 2 shown]
	s_mov_b32 s17, 0xbfd207e7
	v_mul_f64 v[145:146], v[128:129], s[30:31]
	v_mul_f64 v[149:150], v[104:105], s[2:3]
	;; [unrolled: 1-line block ×10, first 2 shown]
	v_add_f64 v[28:29], v[28:29], v[40:41]
	v_add_f64 v[30:31], v[30:31], v[42:43]
	v_mul_f64 v[40:41], v[128:129], s[12:13]
	v_mul_f64 v[42:43], v[128:129], s[18:19]
	;; [unrolled: 1-line block ×3, first 2 shown]
	v_add_f64 v[100:101], v[100:101], -v[137:138]
	v_add_f64 v[98:99], v[139:140], v[98:99]
	v_mul_f64 v[137:138], v[122:123], s[26:27]
	v_add_f64 v[124:125], v[124:125], -v[143:144]
	v_fma_f64 v[143:144], v[72:73], s[24:25], v[145:146]
	v_fma_f64 v[145:146], v[72:73], s[24:25], -v[145:146]
	v_add_f64 v[130:131], v[149:150], v[130:131]
	v_fma_f64 v[149:150], v[92:93], s[24:25], -v[151:152]
	v_fma_f64 v[151:152], v[92:93], s[24:25], v[151:152]
	v_add_f64 v[114:115], v[153:154], v[114:115]
	v_mul_f64 v[139:140], v[116:117], s[18:19]
	v_add_f64 v[132:133], v[132:133], -v[141:142]
	v_mul_f64 v[141:142], v[116:117], s[30:31]
	v_mul_f64 v[116:117], v[116:117], s[12:13]
	v_add_f64 v[108:109], v[159:160], v[108:109]
	v_fma_f64 v[159:160], v[84:85], s[6:7], -v[161:162]
	v_add_f64 v[126:127], v[126:127], -v[147:148]
	v_add_f64 v[28:29], v[28:29], v[48:49]
	v_add_f64 v[30:31], v[30:31], v[50:51]
	v_mul_f64 v[48:49], v[92:93], s[6:7]
	v_mul_f64 v[50:51], v[102:103], s[18:19]
	;; [unrolled: 1-line block ×3, first 2 shown]
	v_add_f64 v[40:41], v[120:121], -v[40:41]
	v_fma_f64 v[120:121], v[72:73], s[14:15], v[42:43]
	v_fma_f64 v[42:43], v[72:73], s[14:15], -v[42:43]
	v_fma_f64 v[153:154], v[72:73], s[10:11], v[128:129]
	v_fma_f64 v[72:73], v[72:73], s[10:11], -v[128:129]
	v_add_f64 v[100:101], v[22:23], v[100:101]
	v_add_f64 v[98:99], v[20:21], v[98:99]
	;; [unrolled: 1-line block ×8, first 2 shown]
	v_mul_f64 v[44:45], v[122:123], s[18:19]
	v_mul_f64 v[46:47], v[134:135], s[18:19]
	v_add_f64 v[48:49], v[48:49], v[112:113]
	v_fma_f64 v[112:113], v[92:93], s[14:15], -v[50:51]
	v_fma_f64 v[50:51], v[92:93], s[14:15], v[50:51]
	v_mul_f64 v[134:135], v[134:135], s[12:13]
	v_fma_f64 v[128:129], v[92:93], s[10:11], -v[102:103]
	v_fma_f64 v[92:93], v[92:93], s[10:11], v[102:103]
	v_mul_f64 v[102:103], v[90:91], s[26:27]
	v_mul_f64 v[122:123], v[122:123], s[20:21]
	;; [unrolled: 1-line block ×3, first 2 shown]
	v_add_f64 v[120:121], v[22:23], v[120:121]
	v_add_f64 v[42:43], v[22:23], v[42:43]
	;; [unrolled: 1-line block ×6, first 2 shown]
	v_mul_f64 v[108:109], v[86:87], s[12:13]
	v_add_f64 v[28:29], v[28:29], v[36:37]
	v_add_f64 v[30:31], v[30:31], v[38:39]
	v_add_f64 v[36:37], v[110:111], -v[44:45]
	v_fma_f64 v[38:39], v[106:107], s[14:15], v[46:47]
	v_fma_f64 v[44:45], v[106:107], s[14:15], -v[46:47]
	v_add_f64 v[46:47], v[155:156], v[118:119]
	v_fma_f64 v[110:111], v[106:107], s[24:25], v[157:158]
	v_fma_f64 v[118:119], v[106:107], s[24:25], -v[157:158]
	v_fma_f64 v[155:156], v[84:85], s[6:7], v[161:162]
	v_fma_f64 v[157:158], v[96:97], s[6:7], -v[163:164]
	v_add_f64 v[112:113], v[20:21], v[112:113]
	v_fma_f64 v[161:162], v[96:97], s[6:7], v[163:164]
	v_add_f64 v[50:51], v[20:21], v[50:51]
	v_add_f64 v[48:49], v[20:21], v[48:49]
	v_fma_f64 v[147:148], v[106:107], s[6:7], v[134:135]
	v_fma_f64 v[106:107], v[106:107], s[6:7], -v[134:135]
	v_fma_f64 v[134:135], v[84:85], s[24:25], v[137:138]
	v_fma_f64 v[137:138], v[84:85], s[24:25], -v[137:138]
	v_add_f64 v[128:129], v[20:21], v[128:129]
	v_add_f64 v[20:21], v[20:21], v[92:93]
	v_fma_f64 v[163:164], v[84:85], s[2:3], v[122:123]
	v_fma_f64 v[84:85], v[84:85], s[2:3], -v[122:123]
	v_fma_f64 v[72:73], v[96:97], s[2:3], v[90:91]
	v_fma_f64 v[90:91], v[96:97], s[2:3], -v[90:91]
	v_mul_f64 v[122:123], v[94:95], s[30:31]
	v_fma_f64 v[92:93], v[104:105], s[14:15], -v[139:140]
	v_add_f64 v[42:43], v[159:160], v[42:43]
	v_mul_f64 v[159:160], v[94:95], s[22:23]
	v_add_f64 v[40:41], v[124:125], v[40:41]
	v_mul_f64 v[124:125], v[88:89], s[22:23]
	v_add_f64 v[28:29], v[28:29], v[32:33]
	v_fma_f64 v[32:33], v[96:97], s[24:25], v[102:103]
	v_fma_f64 v[102:103], v[96:97], s[24:25], -v[102:103]
	v_add_f64 v[30:31], v[30:31], v[34:35]
	v_fma_f64 v[34:35], v[104:105], s[14:15], v[139:140]
	v_fma_f64 v[139:140], v[104:105], s[24:25], -v[141:142]
	v_fma_f64 v[141:142], v[104:105], s[24:25], v[141:142]
	v_fma_f64 v[96:97], v[104:105], s[6:7], -v[116:117]
	v_fma_f64 v[104:105], v[104:105], s[6:7], v[116:117]
	v_mul_f64 v[116:117], v[68:69], s[24:25]
	v_add_f64 v[120:121], v[155:156], v[120:121]
	v_mul_f64 v[155:156], v[94:95], s[28:29]
	v_add_f64 v[112:113], v[157:158], v[112:113]
	;; [unrolled: 2-line block ×4, first 2 shown]
	v_mul_f64 v[114:115], v[88:89], s[18:19]
	v_mul_f64 v[94:95], v[94:95], s[16:17]
	;; [unrolled: 1-line block ×3, first 2 shown]
	v_add_f64 v[36:37], v[36:37], v[100:101]
	v_add_f64 v[22:23], v[137:138], v[22:23]
	;; [unrolled: 1-line block ×5, first 2 shown]
	v_mul_f64 v[100:101], v[86:87], s[26:27]
	v_mul_f64 v[163:164], v[78:79], s[12:13]
	;; [unrolled: 1-line block ×5, first 2 shown]
	v_add_f64 v[82:83], v[82:83], -v[122:123]
	v_fma_f64 v[122:123], v[58:59], s[2:3], -v[159:160]
	v_add_f64 v[46:47], v[46:47], v[98:99]
	v_mul_f64 v[137:138], v[86:87], s[18:19]
	v_add_f64 v[40:41], v[132:133], v[40:41]
	v_add_f64 v[42:43], v[118:119], v[42:43]
	v_mul_f64 v[86:87], v[86:87], s[16:17]
	v_add_f64 v[24:25], v[28:29], v[24:25]
	v_add_f64 v[20:21], v[32:33], v[20:21]
	;; [unrolled: 1-line block ×6, first 2 shown]
	v_mul_f64 v[90:91], v[60:61], s[24:25]
	v_fma_f64 v[149:150], v[68:69], s[2:3], -v[124:125]
	v_fma_f64 v[124:125], v[68:69], s[2:3], v[124:125]
	v_add_f64 v[80:81], v[116:117], v[80:81]
	v_fma_f64 v[116:117], v[58:59], s[2:3], v[159:160]
	v_add_f64 v[76:77], v[76:77], -v[155:156]
	v_mul_f64 v[30:31], v[60:61], s[14:15]
	v_add_f64 v[74:75], v[157:158], v[74:75]
	v_add_f64 v[50:51], v[141:142], v[50:51]
	v_fma_f64 v[128:129], v[58:59], s[14:15], v[161:162]
	v_fma_f64 v[134:135], v[58:59], s[14:15], -v[161:162]
	v_fma_f64 v[153:154], v[68:69], s[14:15], -v[114:115]
	v_fma_f64 v[114:115], v[68:69], s[14:15], v[114:115]
	v_fma_f64 v[155:156], v[58:59], s[10:11], v[94:95]
	v_fma_f64 v[58:59], v[58:59], s[10:11], -v[94:95]
	v_fma_f64 v[94:95], v[68:69], s[10:11], -v[88:89]
	v_fma_f64 v[68:69], v[68:69], s[10:11], v[88:89]
	v_add_f64 v[88:89], v[110:111], v[120:121]
	v_add_f64 v[36:37], v[126:127], v[36:37]
	;; [unrolled: 1-line block ×8, first 2 shown]
	v_fma_f64 v[44:45], v[60:61], s[6:7], -v[163:164]
	v_fma_f64 v[104:105], v[60:61], s[2:3], v[151:152]
	v_add_f64 v[64:65], v[64:65], -v[100:101]
	v_add_f64 v[70:71], v[70:71], -v[137:138]
	v_add_f64 v[40:41], v[82:83], v[40:41]
	v_add_f64 v[16:17], v[24:25], v[16:17]
	;; [unrolled: 1-line block ×7, first 2 shown]
	v_fma_f64 v[92:93], v[60:61], s[6:7], v[163:164]
	v_fma_f64 v[26:27], v[56:57], s[2:3], v[145:146]
	v_fma_f64 v[96:97], v[60:61], s[2:3], -v[151:152]
	v_add_f64 v[62:63], v[90:91], v[62:63]
	v_fma_f64 v[90:91], v[60:61], s[10:11], -v[78:79]
	v_fma_f64 v[60:61], v[60:61], s[10:11], v[78:79]
	v_add_f64 v[30:31], v[30:31], v[66:67]
	v_add_f64 v[46:47], v[74:75], v[46:47]
	v_fma_f64 v[102:103], v[56:57], s[2:3], -v[145:146]
	v_fma_f64 v[38:39], v[56:57], s[6:7], -v[108:109]
	v_fma_f64 v[28:29], v[56:57], s[6:7], v[108:109]
	v_fma_f64 v[66:67], v[56:57], s[10:11], v[86:87]
	v_fma_f64 v[56:57], v[56:57], s[10:11], -v[86:87]
	v_add_f64 v[42:43], v[58:59], v[42:43]
	v_add_f64 v[50:51], v[68:69], v[50:51]
	;; [unrolled: 1-line block ×34, first 2 shown]
	v_mad_u32_u24 v44, 0xa0, v52, v136
	ds_store_b128 v44, v[4:7] offset:128
	ds_store_b128 v44, v[0:3] offset:144
	ds_store_b128 v44, v[24:27] offset:32
	ds_store_b128 v44, v[20:23] offset:48
	ds_store_b128 v44, v[16:19] offset:64
	ds_store_b128 v44, v[36:39] offset:80
	ds_store_b128 v44, v[12:15] offset:112
	ds_store_b128 v44, v[40:43] offset:96
	ds_store_b128 v44, v[32:35] offset:16
	ds_store_b128 v44, v[8:11]
	ds_store_b128 v44, v[28:31] offset:160
.LBB0_19:
	s_or_b32 exec_lo, exec_lo, s1
	v_and_b32_e32 v42, 0xff, v52
	v_add_nc_u32_e32 v40, 0xa5, v52
	v_add_nc_u32_e32 v43, 0x14a, v52
	;; [unrolled: 1-line block ×3, first 2 shown]
	s_waitcnt lgkmcnt(0)
	v_mul_lo_u16 v8, 0x75, v42
	v_and_b32_e32 v41, 0xffff, v40
	v_and_b32_e32 v11, 0xffff, v43
	s_barrier
	buffer_gl0_inv
	v_lshrrev_b16 v8, 8, v8
	v_mul_u32_u24_e32 v45, 0xba2f, v41
	v_mul_u32_u24_e32 v44, 0xba2f, v11
	v_cmp_gt_u32_e64 s0, 0x6e, v52
	s_delay_alu instid0(VALU_DEP_4) | instskip(NEXT) | instid1(VALU_DEP_4)
	v_sub_nc_u16 v9, v52, v8
	v_lshrrev_b32_e32 v64, 19, v45
	s_delay_alu instid0(VALU_DEP_4) | instskip(NEXT) | instid1(VALU_DEP_3)
	v_lshrrev_b32_e32 v65, 19, v44
	v_lshrrev_b16 v9, 1, v9
	s_delay_alu instid0(VALU_DEP_2) | instskip(NEXT) | instid1(VALU_DEP_2)
	v_mul_lo_u16 v11, v65, 11
	v_and_b32_e32 v9, 0x7f, v9
	s_delay_alu instid0(VALU_DEP_2) | instskip(NEXT) | instid1(VALU_DEP_2)
	v_sub_nc_u16 v11, v43, v11
	v_add_nc_u16 v8, v9, v8
	v_and_b32_e32 v9, 0xffff, v10
	s_delay_alu instid0(VALU_DEP_3) | instskip(NEXT) | instid1(VALU_DEP_3)
	v_and_b32_e32 v11, 0xffff, v11
	v_lshrrev_b16 v53, 3, v8
	s_delay_alu instid0(VALU_DEP_3) | instskip(NEXT) | instid1(VALU_DEP_3)
	v_mul_u32_u24_e32 v8, 0xba2f, v9
	v_lshlrev_b32_e32 v69, 4, v11
	s_delay_alu instid0(VALU_DEP_3) | instskip(NEXT) | instid1(VALU_DEP_3)
	v_mul_lo_u16 v9, v53, 11
	v_lshrrev_b32_e32 v66, 19, v8
	v_mul_lo_u16 v8, v64, 11
	s_delay_alu instid0(VALU_DEP_3) | instskip(NEXT) | instid1(VALU_DEP_3)
	v_sub_nc_u16 v9, v52, v9
	v_mul_lo_u16 v12, v66, 11
	s_delay_alu instid0(VALU_DEP_3) | instskip(NEXT) | instid1(VALU_DEP_3)
	v_sub_nc_u16 v8, v40, v8
	v_and_b32_e32 v9, 0xff, v9
	s_delay_alu instid0(VALU_DEP_3) | instskip(NEXT) | instid1(VALU_DEP_3)
	v_sub_nc_u16 v10, v10, v12
	v_and_b32_e32 v8, 0xffff, v8
	s_delay_alu instid0(VALU_DEP_3) | instskip(NEXT) | instid1(VALU_DEP_3)
	v_lshlrev_b32_e32 v67, 4, v9
	v_and_b32_e32 v12, 0xffff, v10
	s_delay_alu instid0(VALU_DEP_3)
	v_lshlrev_b32_e32 v68, 4, v8
	global_load_b128 v[8:11], v67, s[4:5]
	v_lshlrev_b32_e32 v70, 4, v12
	s_clause 0x2
	global_load_b128 v[12:15], v68, s[4:5]
	global_load_b128 v[16:19], v69, s[4:5]
	;; [unrolled: 1-line block ×3, first 2 shown]
	ds_load_b128 v[24:27], v136 offset:10560
	ds_load_b128 v[28:31], v136 offset:13200
	;; [unrolled: 1-line block ×4, first 2 shown]
	s_waitcnt vmcnt(3) lgkmcnt(3)
	v_mul_f64 v[46:47], v[26:27], v[10:11]
	v_mul_f64 v[10:11], v[24:25], v[10:11]
	s_waitcnt vmcnt(2) lgkmcnt(2)
	v_mul_f64 v[48:49], v[30:31], v[14:15]
	v_mul_f64 v[14:15], v[28:29], v[14:15]
	;; [unrolled: 3-line block ×4, first 2 shown]
	v_fma_f64 v[46:47], v[24:25], v[8:9], v[46:47]
	v_fma_f64 v[58:59], v[26:27], v[8:9], -v[10:11]
	v_fma_f64 v[48:49], v[28:29], v[12:13], v[48:49]
	v_fma_f64 v[60:61], v[30:31], v[12:13], -v[14:15]
	v_fma_f64 v[50:51], v[32:33], v[16:17], v[50:51]
	v_fma_f64 v[62:63], v[34:35], v[16:17], -v[18:19]
	v_fma_f64 v[56:57], v[36:37], v[20:21], v[56:57]
	v_fma_f64 v[22:23], v[38:39], v[20:21], -v[22:23]
	ds_load_b128 v[8:11], v136
	ds_load_b128 v[12:15], v136 offset:2640
	ds_load_b128 v[16:19], v136 offset:5280
	;; [unrolled: 1-line block ×3, first 2 shown]
	s_waitcnt lgkmcnt(0)
	s_barrier
	buffer_gl0_inv
	v_add_f64 v[28:29], v[8:9], -v[46:47]
	v_add_f64 v[30:31], v[10:11], -v[58:59]
	;; [unrolled: 1-line block ×8, first 2 shown]
	v_fma_f64 v[46:47], v[8:9], 2.0, -v[28:29]
	v_fma_f64 v[48:49], v[10:11], 2.0, -v[30:31]
	;; [unrolled: 1-line block ×8, first 2 shown]
	v_and_b32_e32 v24, 0xffff, v53
	v_mul_u32_u24_e32 v25, 0x160, v64
	v_mul_u32_u24_e32 v26, 0x160, v65
	;; [unrolled: 1-line block ×3, first 2 shown]
	s_delay_alu instid0(VALU_DEP_4) | instskip(NEXT) | instid1(VALU_DEP_4)
	v_mul_u32_u24_e32 v24, 0x160, v24
	v_add3_u32 v25, 0, v25, v68
	s_delay_alu instid0(VALU_DEP_4) | instskip(NEXT) | instid1(VALU_DEP_4)
	v_add3_u32 v26, 0, v26, v69
	v_add3_u32 v27, 0, v27, v70
	s_delay_alu instid0(VALU_DEP_4)
	v_add3_u32 v24, 0, v24, v67
	ds_store_b128 v24, v[46:49]
	ds_store_b128 v24, v[28:31] offset:176
	ds_store_b128 v25, v[12:15]
	ds_store_b128 v25, v[32:35] offset:176
	;; [unrolled: 2-line block ×4, first 2 shown]
	s_waitcnt lgkmcnt(0)
	s_barrier
	buffer_gl0_inv
	ds_load_b128 v[12:15], v136
	ds_load_b128 v[16:19], v136 offset:2640
	ds_load_b128 v[24:27], v136 offset:7040
	;; [unrolled: 1-line block ×5, first 2 shown]
	s_and_saveexec_b32 s1, s0
	s_cbranch_execz .LBB0_21
; %bb.20:
	ds_load_b128 v[8:11], v136 offset:5280
	ds_load_b128 v[20:23], v136 offset:12320
	ds_load_b128 v[4:7], v136 offset:19360
.LBB0_21:
	s_or_b32 exec_lo, exec_lo, s1
	v_lshrrev_b16 v46, 1, v52
	v_lshrrev_b32_e32 v51, 20, v45
	v_lshrrev_b32_e32 v44, 20, v44
	s_mov_b32 s2, 0xe8584caa
	s_mov_b32 s3, 0xbfebb67a
	v_and_b32_e32 v46, 0x7f, v46
	v_mul_lo_u16 v45, v51, 22
	v_mul_lo_u16 v47, v44, 22
	s_mov_b32 s7, 0x3febb67a
	s_mov_b32 s6, s2
	v_mul_lo_u16 v46, 0xbb, v46
	v_sub_nc_u16 v45, v40, v45
	v_sub_nc_u16 v43, v43, v47
	s_delay_alu instid0(VALU_DEP_3) | instskip(NEXT) | instid1(VALU_DEP_3)
	v_lshrrev_b16 v53, 11, v46
	v_and_b32_e32 v86, 0xffff, v45
	s_delay_alu instid0(VALU_DEP_3) | instskip(NEXT) | instid1(VALU_DEP_3)
	v_and_b32_e32 v43, 0xffff, v43
	v_mul_lo_u16 v46, v53, 22
	s_delay_alu instid0(VALU_DEP_3) | instskip(NEXT) | instid1(VALU_DEP_2)
	v_lshlrev_b32_e32 v49, 5, v86
	v_sub_nc_u16 v46, v52, v46
	s_delay_alu instid0(VALU_DEP_1)
	v_and_b32_e32 v87, 0xff, v46
	s_clause 0x1
	global_load_b128 v[45:48], v49, s[4:5] offset:176
	global_load_b128 v[56:59], v49, s[4:5] offset:192
	v_lshlrev_b32_e32 v49, 5, v43
	v_lshlrev_b32_e32 v50, 5, v87
	s_clause 0x3
	global_load_b128 v[60:63], v50, s[4:5] offset:176
	global_load_b128 v[64:67], v50, s[4:5] offset:192
	global_load_b128 v[68:71], v49, s[4:5] offset:176
	global_load_b128 v[72:75], v49, s[4:5] offset:192
	s_waitcnt vmcnt(0) lgkmcnt(0)
	s_barrier
	buffer_gl0_inv
	v_mul_f64 v[49:50], v[34:35], v[47:48]
	v_mul_f64 v[76:77], v[38:39], v[58:59]
	;; [unrolled: 1-line block ×12, first 2 shown]
	v_fma_f64 v[32:33], v[32:33], v[45:46], v[49:50]
	v_fma_f64 v[36:37], v[36:37], v[56:57], v[76:77]
	v_fma_f64 v[34:35], v[34:35], v[45:46], -v[47:48]
	v_fma_f64 v[38:39], v[38:39], v[56:57], -v[58:59]
	v_fma_f64 v[24:25], v[24:25], v[60:61], v[78:79]
	v_fma_f64 v[28:29], v[28:29], v[64:65], v[80:81]
	v_fma_f64 v[26:27], v[26:27], v[60:61], -v[62:63]
	v_fma_f64 v[30:31], v[30:31], v[64:65], -v[66:67]
	;; [unrolled: 4-line block ×3, first 2 shown]
	v_add_f64 v[62:63], v[16:17], v[32:33]
	v_add_f64 v[45:46], v[32:33], v[36:37]
	v_add_f64 v[32:33], v[32:33], -v[36:37]
	v_add_f64 v[47:48], v[34:35], v[38:39]
	v_add_f64 v[64:65], v[34:35], -v[38:39]
	v_add_f64 v[34:35], v[18:19], v[34:35]
	v_add_f64 v[70:71], v[12:13], v[24:25]
	;; [unrolled: 1-line block ×9, first 2 shown]
	v_fma_f64 v[16:17], v[45:46], -0.5, v[16:17]
	v_add_f64 v[45:46], v[26:27], -v[30:31]
	v_fma_f64 v[18:19], v[47:48], -0.5, v[18:19]
	v_add_f64 v[47:48], v[24:25], -v[28:29]
	v_add_f64 v[24:25], v[70:71], v[28:29]
	v_fma_f64 v[12:13], v[49:50], -0.5, v[12:13]
	v_add_f64 v[49:50], v[22:23], -v[6:7]
	v_fma_f64 v[14:15], v[56:57], -0.5, v[14:15]
	v_add_f64 v[22:23], v[34:35], v[38:39]
	v_fma_f64 v[56:57], v[58:59], -0.5, v[8:9]
	v_add_f64 v[58:59], v[20:21], -v[4:5]
	v_fma_f64 v[60:61], v[60:61], -0.5, v[10:11]
	v_add_f64 v[20:21], v[62:63], v[36:37]
	v_add_f64 v[8:9], v[66:67], v[4:5]
	;; [unrolled: 1-line block ×4, first 2 shown]
	v_fma_f64 v[28:29], v[64:65], s[2:3], v[16:17]
	v_fma_f64 v[4:5], v[64:65], s[6:7], v[16:17]
	;; [unrolled: 1-line block ×12, first 2 shown]
	v_and_b32_e32 v45, 0xffff, v53
	v_lshlrev_b32_e32 v47, 4, v87
	v_mul_u32_u24_e32 v46, 0x420, v51
	v_lshlrev_b32_e32 v48, 4, v86
	s_delay_alu instid0(VALU_DEP_4) | instskip(NEXT) | instid1(VALU_DEP_2)
	v_mul_u32_u24_e32 v45, 0x420, v45
	v_add3_u32 v46, 0, v46, v48
	s_delay_alu instid0(VALU_DEP_2)
	v_add3_u32 v45, 0, v45, v47
	ds_store_b128 v45, v[24:27]
	ds_store_b128 v45, v[32:35] offset:352
	ds_store_b128 v45, v[36:39] offset:704
	ds_store_b128 v46, v[20:23]
	ds_store_b128 v46, v[28:31] offset:352
	ds_store_b128 v46, v[4:7] offset:704
	s_and_saveexec_b32 s1, s0
	s_cbranch_execz .LBB0_23
; %bb.22:
	v_mul_lo_u16 v20, 0x42, v44
	v_lshlrev_b32_e32 v21, 4, v43
	s_delay_alu instid0(VALU_DEP_2) | instskip(NEXT) | instid1(VALU_DEP_1)
	v_and_b32_e32 v20, 0xffff, v20
	v_lshlrev_b32_e32 v20, 4, v20
	s_delay_alu instid0(VALU_DEP_1)
	v_add3_u32 v20, 0, v21, v20
	ds_store_b128 v20, v[8:11]
	ds_store_b128 v20, v[12:15] offset:352
	ds_store_b128 v20, v[16:19] offset:704
.LBB0_23:
	s_or_b32 exec_lo, exec_lo, s1
	s_waitcnt lgkmcnt(0)
	s_barrier
	buffer_gl0_inv
	ds_load_b128 v[20:23], v136
	ds_load_b128 v[36:39], v136 offset:4224
	ds_load_b128 v[24:27], v136 offset:8448
	ds_load_b128 v[28:31], v136 offset:12672
	ds_load_b128 v[32:35], v136 offset:16896
	v_cmp_gt_u32_e64 s0, 0x63, v52
	s_delay_alu instid0(VALU_DEP_1)
	s_and_saveexec_b32 s1, s0
	s_cbranch_execz .LBB0_25
; %bb.24:
	ds_load_b128 v[4:7], v136 offset:2640
	ds_load_b128 v[8:11], v136 offset:6864
	;; [unrolled: 1-line block ×5, first 2 shown]
.LBB0_25:
	s_or_b32 exec_lo, exec_lo, s1
	v_mul_lo_u16 v42, 0xf9, v42
	s_mov_b32 s2, 0x134454ff
	s_mov_b32 s3, 0xbfee6f0e
	;; [unrolled: 1-line block ×4, first 2 shown]
	v_lshrrev_b16 v53, 14, v42
	s_mov_b32 s12, 0x4755a5e
	s_mov_b32 s13, 0xbfe2cf23
	;; [unrolled: 1-line block ×4, first 2 shown]
	v_mul_lo_u16 v42, 0x42, v53
	s_mov_b32 s14, 0x372fe950
	s_mov_b32 s15, 0x3fd3c6ef
	s_delay_alu instid0(VALU_DEP_1) | instskip(NEXT) | instid1(VALU_DEP_1)
	v_sub_nc_u16 v42, v52, v42
	v_and_b32_e32 v78, 0xff, v42
	s_delay_alu instid0(VALU_DEP_1)
	v_lshlrev_b32_e32 v50, 6, v78
	s_clause 0x3
	global_load_b128 v[42:45], v50, s[4:5] offset:880
	global_load_b128 v[46:49], v50, s[4:5] offset:896
	;; [unrolled: 1-line block ×4, first 2 shown]
	s_waitcnt vmcnt(0) lgkmcnt(0)
	s_barrier
	buffer_gl0_inv
	v_mul_f64 v[50:51], v[38:39], v[44:45]
	v_mul_f64 v[64:65], v[26:27], v[48:49]
	;; [unrolled: 1-line block ×8, first 2 shown]
	v_fma_f64 v[36:37], v[36:37], v[42:43], v[50:51]
	v_fma_f64 v[24:25], v[24:25], v[46:47], v[64:65]
	;; [unrolled: 1-line block ×4, first 2 shown]
	v_fma_f64 v[26:27], v[26:27], v[46:47], -v[48:49]
	v_fma_f64 v[30:31], v[30:31], v[56:57], -v[58:59]
	;; [unrolled: 1-line block ×4, first 2 shown]
	v_add_f64 v[50:51], v[20:21], v[36:37]
	v_add_f64 v[42:43], v[24:25], v[28:29]
	;; [unrolled: 1-line block ×3, first 2 shown]
	v_add_f64 v[62:63], v[36:37], -v[32:33]
	v_add_f64 v[46:47], v[26:27], v[30:31]
	v_add_f64 v[60:61], v[22:23], v[38:39]
	;; [unrolled: 1-line block ×3, first 2 shown]
	v_add_f64 v[56:57], v[38:39], -v[34:35]
	v_add_f64 v[58:59], v[26:27], -v[30:31]
	;; [unrolled: 1-line block ×8, first 2 shown]
	v_fma_f64 v[42:43], v[42:43], -0.5, v[20:21]
	v_fma_f64 v[20:21], v[44:45], -0.5, v[20:21]
	v_add_f64 v[44:45], v[24:25], -v[28:29]
	v_fma_f64 v[46:47], v[46:47], -0.5, v[22:23]
	v_add_f64 v[26:27], v[60:61], v[26:27]
	v_fma_f64 v[22:23], v[48:49], -0.5, v[22:23]
	v_add_f64 v[48:49], v[36:37], -v[24:25]
	v_add_f64 v[36:37], v[24:25], -v[36:37]
	v_add_f64 v[24:25], v[50:51], v[24:25]
	v_add_f64 v[38:39], v[38:39], v[72:73]
	v_fma_f64 v[50:51], v[56:57], s[2:3], v[42:43]
	v_fma_f64 v[42:43], v[56:57], s[6:7], v[42:43]
	;; [unrolled: 1-line block ×8, first 2 shown]
	v_add_f64 v[24:25], v[24:25], v[28:29]
	v_add_f64 v[26:27], v[26:27], v[30:31]
	;; [unrolled: 1-line block ×5, first 2 shown]
	v_fma_f64 v[28:29], v[58:59], s[12:13], v[50:51]
	v_fma_f64 v[30:31], v[58:59], s[10:11], v[42:43]
	v_fma_f64 v[42:43], v[56:57], s[12:13], v[60:61]
	v_fma_f64 v[50:51], v[56:57], s[10:11], v[20:21]
	v_fma_f64 v[56:57], v[44:45], s[10:11], v[74:75]
	v_fma_f64 v[58:59], v[62:63], s[10:11], v[76:77]
	v_fma_f64 v[60:61], v[62:63], s[12:13], v[22:23]
	v_fma_f64 v[44:45], v[44:45], s[12:13], v[46:47]
	v_add_f64 v[20:21], v[24:25], v[32:33]
	v_add_f64 v[22:23], v[26:27], v[34:35]
	v_fma_f64 v[24:25], v[48:49], s[14:15], v[28:29]
	v_fma_f64 v[28:29], v[48:49], s[14:15], v[30:31]
	;; [unrolled: 1-line block ×8, first 2 shown]
	v_and_b32_e32 v42, 0xffff, v53
	v_lshlrev_b32_e32 v43, 4, v78
	s_delay_alu instid0(VALU_DEP_2) | instskip(NEXT) | instid1(VALU_DEP_1)
	v_mul_u32_u24_e32 v42, 0x14a0, v42
	v_add3_u32 v42, 0, v42, v43
	ds_store_b128 v42, v[20:23]
	ds_store_b128 v42, v[24:27] offset:1056
	ds_store_b128 v42, v[32:35] offset:2112
	ds_store_b128 v42, v[36:39] offset:3168
	ds_store_b128 v42, v[28:31] offset:4224
	s_and_saveexec_b32 s1, s0
	s_cbranch_execz .LBB0_27
; %bb.26:
	v_mul_u32_u24_e32 v20, 0xf83f, v41
	s_delay_alu instid0(VALU_DEP_1) | instskip(NEXT) | instid1(VALU_DEP_1)
	v_lshrrev_b32_e32 v53, 22, v20
	v_mul_lo_u16 v20, 0x42, v53
	s_delay_alu instid0(VALU_DEP_1) | instskip(NEXT) | instid1(VALU_DEP_1)
	v_sub_nc_u16 v20, v40, v20
	v_and_b32_e32 v56, 0xffff, v20
	s_delay_alu instid0(VALU_DEP_1)
	v_lshlrev_b32_e32 v32, 6, v56
	s_clause 0x3
	global_load_b128 v[20:23], v32, s[4:5] offset:896
	global_load_b128 v[24:27], v32, s[4:5] offset:880
	;; [unrolled: 1-line block ×4, first 2 shown]
	s_waitcnt vmcnt(3)
	v_mul_f64 v[36:37], v[12:13], v[22:23]
	s_waitcnt vmcnt(2)
	v_mul_f64 v[38:39], v[8:9], v[26:27]
	;; [unrolled: 2-line block ×4, first 2 shown]
	v_mul_f64 v[22:23], v[14:15], v[22:23]
	v_mul_f64 v[34:35], v[18:19], v[34:35]
	v_mul_f64 v[26:27], v[10:11], v[26:27]
	v_mul_f64 v[30:31], v[2:3], v[30:31]
	v_fma_f64 v[14:15], v[14:15], v[20:21], -v[36:37]
	v_fma_f64 v[10:11], v[10:11], v[24:25], -v[38:39]
	;; [unrolled: 1-line block ×4, first 2 shown]
	v_fma_f64 v[12:13], v[12:13], v[20:21], v[22:23]
	v_fma_f64 v[16:17], v[16:17], v[32:33], v[34:35]
	;; [unrolled: 1-line block ×4, first 2 shown]
	v_add_f64 v[32:33], v[6:7], v[10:11]
	v_add_f64 v[20:21], v[10:11], v[2:3]
	;; [unrolled: 1-line block ×3, first 2 shown]
	v_add_f64 v[36:37], v[10:11], -v[2:3]
	v_add_f64 v[24:25], v[12:13], v[16:17]
	v_add_f64 v[34:35], v[4:5], v[8:9]
	;; [unrolled: 1-line block ×3, first 2 shown]
	v_add_f64 v[28:29], v[12:13], -v[16:17]
	v_add_f64 v[30:31], v[8:9], -v[0:1]
	;; [unrolled: 1-line block ×8, first 2 shown]
	v_fma_f64 v[20:21], v[20:21], -0.5, v[6:7]
	v_fma_f64 v[6:7], v[22:23], -0.5, v[6:7]
	v_add_f64 v[22:23], v[14:15], -v[18:19]
	v_fma_f64 v[24:25], v[24:25], -0.5, v[4:5]
	v_add_f64 v[12:13], v[34:35], v[12:13]
	v_fma_f64 v[4:5], v[26:27], -0.5, v[4:5]
	v_add_f64 v[26:27], v[14:15], -v[10:11]
	v_add_f64 v[10:11], v[10:11], -v[14:15]
	v_add_f64 v[14:15], v[32:33], v[14:15]
	v_fma_f64 v[32:33], v[28:29], s[6:7], v[20:21]
	v_fma_f64 v[20:21], v[28:29], s[2:3], v[20:21]
	;; [unrolled: 1-line block ×8, first 2 shown]
	v_add_f64 v[26:27], v[26:27], v[38:39]
	v_add_f64 v[38:39], v[10:11], v[40:41]
	;; [unrolled: 1-line block ×6, first 2 shown]
	v_fma_f64 v[12:13], v[30:31], s[12:13], v[32:33]
	v_fma_f64 v[14:15], v[30:31], s[10:11], v[20:21]
	;; [unrolled: 1-line block ×8, first 2 shown]
	v_add_f64 v[2:3], v[8:9], v[2:3]
	v_add_f64 v[0:1], v[10:11], v[0:1]
	v_fma_f64 v[6:7], v[26:27], s[14:15], v[12:13]
	v_fma_f64 v[10:11], v[26:27], s[14:15], v[14:15]
	;; [unrolled: 1-line block ×8, first 2 shown]
	v_mul_lo_u16 v20, 0x14a, v53
	v_lshlrev_b32_e32 v21, 4, v56
	s_delay_alu instid0(VALU_DEP_2) | instskip(NEXT) | instid1(VALU_DEP_1)
	v_and_b32_e32 v20, 0xffff, v20
	v_lshlrev_b32_e32 v20, 4, v20
	s_delay_alu instid0(VALU_DEP_1)
	v_add3_u32 v20, 0, v21, v20
	ds_store_b128 v20, v[0:3]
	ds_store_b128 v20, v[16:19] offset:1056
	ds_store_b128 v20, v[8:11] offset:2112
	;; [unrolled: 1-line block ×4, first 2 shown]
.LBB0_27:
	s_or_b32 exec_lo, exec_lo, s1
	v_mul_u32_u24_e32 v0, 3, v52
	s_waitcnt lgkmcnt(0)
	s_barrier
	buffer_gl0_inv
	v_lshlrev_b32_e32 v0, 4, v0
	s_delay_alu instid0(VALU_DEP_1) | instskip(NEXT) | instid1(VALU_DEP_1)
	v_add_co_u32 v10, s0, s4, v0
	v_add_co_ci_u32_e64 v11, null, s5, 0, s0
	s_delay_alu instid0(VALU_DEP_2) | instskip(NEXT) | instid1(VALU_DEP_1)
	v_add_co_u32 v0, s0, 0x1000, v10
	v_add_co_ci_u32_e64 v1, s0, 0, v11, s0
	v_add_co_u32 v8, s0, 0x13f0, v10
	s_delay_alu instid0(VALU_DEP_1) | instskip(SKIP_1) | instid1(VALU_DEP_1)
	v_add_co_ci_u32_e64 v9, s0, 0, v11, s0
	v_add_co_u32 v12, s0, 0x3000, v10
	v_add_co_ci_u32_e64 v13, s0, 0, v11, s0
	v_add_co_u32 v20, s0, 0x32e0, v10
	s_delay_alu instid0(VALU_DEP_1)
	v_add_co_ci_u32_e64 v21, s0, 0, v11, s0
	s_clause 0x5
	global_load_b128 v[0:3], v[0:1], off offset:1008
	global_load_b128 v[4:7], v[8:9], off offset:16
	global_load_b128 v[8:11], v[8:9], off offset:32
	global_load_b128 v[12:15], v[12:13], off offset:736
	global_load_b128 v[16:19], v[20:21], off offset:16
	global_load_b128 v[20:23], v[20:21], off offset:32
	ds_load_b128 v[24:27], v136 offset:5280
	ds_load_b128 v[28:31], v136 offset:10560
	;; [unrolled: 1-line block ×6, first 2 shown]
	s_waitcnt vmcnt(3) lgkmcnt(3)
	v_mul_f64 v[56:57], v[34:35], v[10:11]
	v_mul_f64 v[48:49], v[26:27], v[2:3]
	;; [unrolled: 1-line block ×6, first 2 shown]
	s_waitcnt vmcnt(2) lgkmcnt(2)
	v_mul_f64 v[58:59], v[38:39], v[14:15]
	v_mul_f64 v[14:15], v[36:37], v[14:15]
	s_waitcnt vmcnt(1) lgkmcnt(1)
	v_mul_f64 v[60:61], v[42:43], v[18:19]
	v_mul_f64 v[18:19], v[40:41], v[18:19]
	;; [unrolled: 3-line block ×3, first 2 shown]
	v_fma_f64 v[32:33], v[32:33], v[8:9], v[56:57]
	v_fma_f64 v[24:25], v[24:25], v[0:1], v[48:49]
	v_fma_f64 v[26:27], v[26:27], v[0:1], -v[2:3]
	v_fma_f64 v[28:29], v[28:29], v[4:5], v[50:51]
	v_fma_f64 v[30:31], v[30:31], v[4:5], -v[6:7]
	v_fma_f64 v[8:9], v[34:35], v[8:9], -v[10:11]
	v_fma_f64 v[10:11], v[36:37], v[12:13], v[58:59]
	v_fma_f64 v[12:13], v[38:39], v[12:13], -v[14:15]
	v_fma_f64 v[14:15], v[40:41], v[16:17], v[60:61]
	;; [unrolled: 2-line block ×3, first 2 shown]
	v_fma_f64 v[20:21], v[46:47], v[20:21], -v[22:23]
	ds_load_b128 v[0:3], v136
	ds_load_b128 v[4:7], v136 offset:2640
	s_waitcnt lgkmcnt(0)
	s_barrier
	buffer_gl0_inv
	v_add_f64 v[22:23], v[0:1], -v[28:29]
	v_add_f64 v[28:29], v[2:3], -v[30:31]
	;; [unrolled: 1-line block ×8, first 2 shown]
	v_fma_f64 v[36:37], v[0:1], 2.0, -v[22:23]
	v_fma_f64 v[38:39], v[2:3], 2.0, -v[28:29]
	;; [unrolled: 1-line block ×4, first 2 shown]
	v_add_f64 v[0:1], v[22:23], v[8:9]
	v_fma_f64 v[40:41], v[4:5], 2.0, -v[32:33]
	v_fma_f64 v[42:43], v[6:7], 2.0, -v[34:35]
	;; [unrolled: 1-line block ×4, first 2 shown]
	v_add_f64 v[2:3], v[28:29], -v[30:31]
	v_add_f64 v[4:5], v[32:33], v[16:17]
	v_add_f64 v[6:7], v[34:35], -v[14:15]
	v_add_f64 v[8:9], v[36:37], -v[18:19]
	;; [unrolled: 1-line block ×3, first 2 shown]
	v_fma_f64 v[16:17], v[22:23], 2.0, -v[0:1]
	v_add_f64 v[12:13], v[40:41], -v[24:25]
	v_add_f64 v[14:15], v[42:43], -v[26:27]
	v_fma_f64 v[18:19], v[28:29], 2.0, -v[2:3]
	v_fma_f64 v[20:21], v[32:33], 2.0, -v[4:5]
	;; [unrolled: 1-line block ×7, first 2 shown]
	ds_store_b128 v136, v[0:3] offset:15840
	ds_store_b128 v136, v[4:7] offset:18480
	;; [unrolled: 1-line block ×6, first 2 shown]
	ds_store_b128 v136, v[24:27]
	ds_store_b128 v136, v[28:31] offset:2640
	s_waitcnt lgkmcnt(0)
	s_barrier
	buffer_gl0_inv
	s_and_saveexec_b32 s0, vcc_lo
	s_cbranch_execz .LBB0_29
; %bb.28:
	v_lshl_add_u32 v20, v52, 4, 0
	v_dual_mov_b32 v53, 0 :: v_dual_add_nc_u32 v8, 0xa5, v52
	v_add_co_u32 v36, vcc_lo, s8, v54
	ds_load_b128 v[0:3], v20
	ds_load_b128 v[4:7], v20 offset:2640
	v_dual_mov_b32 v9, v53 :: v_dual_add_nc_u32 v12, 0x14a, v52
	v_lshlrev_b64 v[10:11], 4, v[52:53]
	v_add_co_ci_u32_e32 v37, vcc_lo, s9, v55, vcc_lo
	s_delay_alu instid0(VALU_DEP_3) | instskip(SKIP_1) | instid1(VALU_DEP_4)
	v_lshlrev_b64 v[8:9], 4, v[8:9]
	v_dual_mov_b32 v13, v53 :: v_dual_add_nc_u32 v14, 0x1ef, v52
	v_add_co_u32 v10, vcc_lo, v36, v10
	s_delay_alu instid0(VALU_DEP_4) | instskip(NEXT) | instid1(VALU_DEP_4)
	v_add_co_ci_u32_e32 v11, vcc_lo, v37, v11, vcc_lo
	v_add_co_u32 v8, vcc_lo, v36, v8
	v_mov_b32_e32 v15, v53
	v_add_co_ci_u32_e32 v9, vcc_lo, v37, v9, vcc_lo
	v_lshlrev_b64 v[12:13], 4, v[12:13]
	v_dual_mov_b32 v17, v53 :: v_dual_add_nc_u32 v18, 0x3de, v52
	s_waitcnt lgkmcnt(1)
	global_store_b128 v[10:11], v[0:3], off
	s_waitcnt lgkmcnt(0)
	global_store_b128 v[8:9], v[4:7], off
	v_add_nc_u32_e32 v10, 0x294, v52
	v_lshlrev_b64 v[8:9], 4, v[14:15]
	v_add_co_u32 v24, vcc_lo, v36, v12
	v_dual_mov_b32 v11, v53 :: v_dual_add_nc_u32 v16, 0x339, v52
	v_add_co_ci_u32_e32 v25, vcc_lo, v37, v13, vcc_lo
	s_delay_alu instid0(VALU_DEP_4) | instskip(SKIP_1) | instid1(VALU_DEP_4)
	v_add_co_u32 v26, vcc_lo, v36, v8
	v_add_co_ci_u32_e32 v27, vcc_lo, v37, v9, vcc_lo
	v_lshlrev_b64 v[8:9], 4, v[10:11]
	v_dual_mov_b32 v19, v53 :: v_dual_add_nc_u32 v52, 0x483, v52
	ds_load_b128 v[0:3], v20 offset:5280
	ds_load_b128 v[4:7], v20 offset:7920
	v_lshlrev_b64 v[30:31], 4, v[16:17]
	v_add_co_u32 v28, vcc_lo, v36, v8
	v_add_co_ci_u32_e32 v29, vcc_lo, v37, v9, vcc_lo
	ds_load_b128 v[8:11], v20 offset:10560
	ds_load_b128 v[12:15], v20 offset:13200
	v_lshlrev_b64 v[32:33], 4, v[18:19]
	ds_load_b128 v[16:19], v20 offset:15840
	ds_load_b128 v[20:23], v20 offset:18480
	v_add_co_u32 v30, vcc_lo, v36, v30
	v_lshlrev_b64 v[34:35], 4, v[52:53]
	v_add_co_ci_u32_e32 v31, vcc_lo, v37, v31, vcc_lo
	v_add_co_u32 v32, vcc_lo, v36, v32
	v_add_co_ci_u32_e32 v33, vcc_lo, v37, v33, vcc_lo
	s_delay_alu instid0(VALU_DEP_4)
	v_add_co_u32 v34, vcc_lo, v36, v34
	v_add_co_ci_u32_e32 v35, vcc_lo, v37, v35, vcc_lo
	s_waitcnt lgkmcnt(5)
	global_store_b128 v[24:25], v[0:3], off
	s_waitcnt lgkmcnt(4)
	global_store_b128 v[26:27], v[4:7], off
	;; [unrolled: 2-line block ×6, first 2 shown]
.LBB0_29:
	s_nop 0
	s_sendmsg sendmsg(MSG_DEALLOC_VGPRS)
	s_endpgm
	.section	.rodata,"a",@progbits
	.p2align	6, 0x0
	.amdhsa_kernel fft_rtc_back_len1320_factors_11_2_3_5_4_wgs_165_tpt_165_dp_ip_CI_unitstride_sbrr_C2R_dirReg
		.amdhsa_group_segment_fixed_size 0
		.amdhsa_private_segment_fixed_size 0
		.amdhsa_kernarg_size 88
		.amdhsa_user_sgpr_count 15
		.amdhsa_user_sgpr_dispatch_ptr 0
		.amdhsa_user_sgpr_queue_ptr 0
		.amdhsa_user_sgpr_kernarg_segment_ptr 1
		.amdhsa_user_sgpr_dispatch_id 0
		.amdhsa_user_sgpr_private_segment_size 0
		.amdhsa_wavefront_size32 1
		.amdhsa_uses_dynamic_stack 0
		.amdhsa_enable_private_segment 0
		.amdhsa_system_sgpr_workgroup_id_x 1
		.amdhsa_system_sgpr_workgroup_id_y 0
		.amdhsa_system_sgpr_workgroup_id_z 0
		.amdhsa_system_sgpr_workgroup_info 0
		.amdhsa_system_vgpr_workitem_id 0
		.amdhsa_next_free_vgpr 165
		.amdhsa_next_free_sgpr 32
		.amdhsa_reserve_vcc 1
		.amdhsa_float_round_mode_32 0
		.amdhsa_float_round_mode_16_64 0
		.amdhsa_float_denorm_mode_32 3
		.amdhsa_float_denorm_mode_16_64 3
		.amdhsa_dx10_clamp 1
		.amdhsa_ieee_mode 1
		.amdhsa_fp16_overflow 0
		.amdhsa_workgroup_processor_mode 1
		.amdhsa_memory_ordered 1
		.amdhsa_forward_progress 0
		.amdhsa_shared_vgpr_count 0
		.amdhsa_exception_fp_ieee_invalid_op 0
		.amdhsa_exception_fp_denorm_src 0
		.amdhsa_exception_fp_ieee_div_zero 0
		.amdhsa_exception_fp_ieee_overflow 0
		.amdhsa_exception_fp_ieee_underflow 0
		.amdhsa_exception_fp_ieee_inexact 0
		.amdhsa_exception_int_div_zero 0
	.end_amdhsa_kernel
	.text
.Lfunc_end0:
	.size	fft_rtc_back_len1320_factors_11_2_3_5_4_wgs_165_tpt_165_dp_ip_CI_unitstride_sbrr_C2R_dirReg, .Lfunc_end0-fft_rtc_back_len1320_factors_11_2_3_5_4_wgs_165_tpt_165_dp_ip_CI_unitstride_sbrr_C2R_dirReg
                                        ; -- End function
	.section	.AMDGPU.csdata,"",@progbits
; Kernel info:
; codeLenInByte = 10504
; NumSgprs: 34
; NumVgprs: 165
; ScratchSize: 0
; MemoryBound: 0
; FloatMode: 240
; IeeeMode: 1
; LDSByteSize: 0 bytes/workgroup (compile time only)
; SGPRBlocks: 4
; VGPRBlocks: 20
; NumSGPRsForWavesPerEU: 34
; NumVGPRsForWavesPerEU: 165
; Occupancy: 9
; WaveLimiterHint : 1
; COMPUTE_PGM_RSRC2:SCRATCH_EN: 0
; COMPUTE_PGM_RSRC2:USER_SGPR: 15
; COMPUTE_PGM_RSRC2:TRAP_HANDLER: 0
; COMPUTE_PGM_RSRC2:TGID_X_EN: 1
; COMPUTE_PGM_RSRC2:TGID_Y_EN: 0
; COMPUTE_PGM_RSRC2:TGID_Z_EN: 0
; COMPUTE_PGM_RSRC2:TIDIG_COMP_CNT: 0
	.text
	.p2alignl 7, 3214868480
	.fill 96, 4, 3214868480
	.type	__hip_cuid_35cef78456422d87,@object ; @__hip_cuid_35cef78456422d87
	.section	.bss,"aw",@nobits
	.globl	__hip_cuid_35cef78456422d87
__hip_cuid_35cef78456422d87:
	.byte	0                               ; 0x0
	.size	__hip_cuid_35cef78456422d87, 1

	.ident	"AMD clang version 19.0.0git (https://github.com/RadeonOpenCompute/llvm-project roc-6.4.0 25133 c7fe45cf4b819c5991fe208aaa96edf142730f1d)"
	.section	".note.GNU-stack","",@progbits
	.addrsig
	.addrsig_sym __hip_cuid_35cef78456422d87
	.amdgpu_metadata
---
amdhsa.kernels:
  - .args:
      - .actual_access:  read_only
        .address_space:  global
        .offset:         0
        .size:           8
        .value_kind:     global_buffer
      - .offset:         8
        .size:           8
        .value_kind:     by_value
      - .actual_access:  read_only
        .address_space:  global
        .offset:         16
        .size:           8
        .value_kind:     global_buffer
      - .actual_access:  read_only
        .address_space:  global
        .offset:         24
        .size:           8
        .value_kind:     global_buffer
      - .offset:         32
        .size:           8
        .value_kind:     by_value
      - .actual_access:  read_only
        .address_space:  global
        .offset:         40
        .size:           8
        .value_kind:     global_buffer
      - .actual_access:  read_only
        .address_space:  global
        .offset:         48
        .size:           8
        .value_kind:     global_buffer
      - .offset:         56
        .size:           4
        .value_kind:     by_value
      - .actual_access:  read_only
        .address_space:  global
        .offset:         64
        .size:           8
        .value_kind:     global_buffer
      - .actual_access:  read_only
        .address_space:  global
        .offset:         72
        .size:           8
        .value_kind:     global_buffer
      - .address_space:  global
        .offset:         80
        .size:           8
        .value_kind:     global_buffer
    .group_segment_fixed_size: 0
    .kernarg_segment_align: 8
    .kernarg_segment_size: 88
    .language:       OpenCL C
    .language_version:
      - 2
      - 0
    .max_flat_workgroup_size: 165
    .name:           fft_rtc_back_len1320_factors_11_2_3_5_4_wgs_165_tpt_165_dp_ip_CI_unitstride_sbrr_C2R_dirReg
    .private_segment_fixed_size: 0
    .sgpr_count:     34
    .sgpr_spill_count: 0
    .symbol:         fft_rtc_back_len1320_factors_11_2_3_5_4_wgs_165_tpt_165_dp_ip_CI_unitstride_sbrr_C2R_dirReg.kd
    .uniform_work_group_size: 1
    .uses_dynamic_stack: false
    .vgpr_count:     165
    .vgpr_spill_count: 0
    .wavefront_size: 32
    .workgroup_processor_mode: 1
amdhsa.target:   amdgcn-amd-amdhsa--gfx1100
amdhsa.version:
  - 1
  - 2
...

	.end_amdgpu_metadata
